;; amdgpu-corpus repo=ROCm/rocFFT kind=compiled arch=gfx1030 opt=O3
	.text
	.amdgcn_target "amdgcn-amd-amdhsa--gfx1030"
	.amdhsa_code_object_version 6
	.protected	fft_rtc_back_len56_factors_4_7_2_wgs_128_tpt_8_dim2_dp_op_CI_CI_sbrr_dirReg ; -- Begin function fft_rtc_back_len56_factors_4_7_2_wgs_128_tpt_8_dim2_dp_op_CI_CI_sbrr_dirReg
	.globl	fft_rtc_back_len56_factors_4_7_2_wgs_128_tpt_8_dim2_dp_op_CI_CI_sbrr_dirReg
	.p2align	8
	.type	fft_rtc_back_len56_factors_4_7_2_wgs_128_tpt_8_dim2_dp_op_CI_CI_sbrr_dirReg,@function
fft_rtc_back_len56_factors_4_7_2_wgs_128_tpt_8_dim2_dp_op_CI_CI_sbrr_dirReg: ; @fft_rtc_back_len56_factors_4_7_2_wgs_128_tpt_8_dim2_dp_op_CI_CI_sbrr_dirReg
; %bb.0:
	s_clause 0x1
	s_load_dwordx2 s[0:1], s[4:5], 0x8
	s_load_dwordx2 s[2:3], s[4:5], 0x18
	v_lshrrev_b32_e32 v35, 3, v0
	v_mov_b32_e32 v33, 0
	v_mov_b32_e32 v2, 0
	v_mov_b32_e32 v34, 0
	v_lshl_or_b32 v1, s6, 4, v35
	s_mov_b32 s6, exec_lo
	s_waitcnt lgkmcnt(0)
	s_load_dwordx2 s[0:1], s[0:1], 0x8
	s_waitcnt lgkmcnt(0)
	v_cmpx_le_u64_e64 s[0:1], v[1:2]
	s_cbranch_execz .LBB0_2
; %bb.1:
	v_cvt_f32_u32_e32 v3, s0
	s_sub_i32 s7, 0, s0
	v_mov_b32_e32 v34, v2
	v_rcp_iflag_f32_e32 v3, v3
	v_mul_f32_e32 v3, 0x4f7ffffe, v3
	v_cvt_u32_f32_e32 v3, v3
	v_mul_lo_u32 v4, s7, v3
	v_mul_hi_u32 v4, v3, v4
	v_add_nc_u32_e32 v3, v3, v4
	v_mul_hi_u32 v3, v1, v3
	v_mul_lo_u32 v4, v3, s0
	v_add_nc_u32_e32 v5, 1, v3
	v_sub_nc_u32_e32 v4, v1, v4
	v_subrev_nc_u32_e32 v6, s0, v4
	v_cmp_le_u32_e32 vcc_lo, s0, v4
	v_cndmask_b32_e32 v4, v4, v6, vcc_lo
	v_cndmask_b32_e32 v3, v3, v5, vcc_lo
	v_cmp_le_u32_e32 vcc_lo, s0, v4
	v_add_nc_u32_e32 v5, 1, v3
	v_cndmask_b32_e32 v33, v3, v5, vcc_lo
.LBB0_2:
	s_or_b32 exec_lo, exec_lo, s6
	s_load_dwordx2 s[6:7], s[4:5], 0x20
	v_mad_u64_u32 v[2:3], null, v33, s0, 0
	v_and_b32_e32 v38, 7, v0
                                        ; implicit-def: $vgpr36
	v_mad_u64_u32 v[3:4], null, v33, s1, v[3:4]
	v_sub_co_u32 v39, s1, v1, v2
	v_sub_co_ci_u32_e64 v40, s1, 0, v3, s1
	s_waitcnt lgkmcnt(0)
	v_cmp_gt_u64_e32 vcc_lo, s[6:7], v[33:34]
	v_cmp_le_u64_e64 s0, s[6:7], v[33:34]
                                        ; implicit-def: $vgpr34
	s_and_saveexec_b32 s1, s0
	s_xor_b32 s0, exec_lo, s1
; %bb.3:
	v_and_b32_e32 v34, 7, v0
                                        ; implicit-def: $vgpr38
	v_or_b32_e32 v36, 8, v34
; %bb.4:
	s_or_saveexec_b32 s16, s0
	s_load_dwordx2 s[12:13], s[4:5], 0x0
	s_clause 0x1
	s_load_dwordx2 s[6:7], s[2:3], 0x0
	s_load_dwordx4 s[8:11], s[2:3], 0x8
                                        ; implicit-def: $vgpr3_vgpr4
                                        ; implicit-def: $vgpr11_vgpr12
                                        ; implicit-def: $vgpr23_vgpr24
                                        ; implicit-def: $vgpr31_vgpr32
                                        ; implicit-def: $vgpr27_vgpr28
                                        ; implicit-def: $vgpr19_vgpr20
                                        ; implicit-def: $vgpr15_vgpr16
                                        ; implicit-def: $vgpr7_vgpr8
	s_xor_b32 exec_lo, exec_lo, s16
	s_cbranch_execz .LBB0_8
; %bb.5:
	s_clause 0x1
	s_load_dwordx2 s[14:15], s[4:5], 0x10
	s_load_dwordx2 s[18:19], s[4:5], 0x50
	v_add_nc_u32_e32 v16, 14, v38
	v_add_nc_u32_e32 v17, 28, v38
	;; [unrolled: 1-line block ×3, first 2 shown]
	v_or_b32_e32 v36, 8, v38
                                        ; implicit-def: $vgpr25_vgpr26
                                        ; implicit-def: $vgpr29_vgpr30
                                        ; implicit-def: $vgpr21_vgpr22
	s_waitcnt lgkmcnt(0)
	s_clause 0x1
	s_load_dwordx4 s[0:3], s[14:15], 0x8
	s_load_dwordx2 s[14:15], s[14:15], 0x0
	s_waitcnt lgkmcnt(0)
	v_mad_u64_u32 v[1:2], null, s2, v33, 0
	v_mul_lo_u32 v13, s1, v39
	v_mul_lo_u32 v14, s0, v40
	v_mad_u64_u32 v[3:4], null, s0, v39, 0
	v_mad_u64_u32 v[5:6], null, s14, v38, 0
	;; [unrolled: 1-line block ×4, first 2 shown]
	v_add3_u32 v4, v4, v14, v13
	v_mad_u64_u32 v[13:14], null, s3, v33, v[2:3]
	v_mad_u64_u32 v[11:12], null, s14, v18, 0
	;; [unrolled: 1-line block ×4, first 2 shown]
	v_mov_b32_e32 v2, v13
	v_lshlrev_b64 v[3:4], 4, v[3:4]
	v_mad_u64_u32 v[16:17], null, s15, v17, v[10:11]
	v_mov_b32_e32 v6, v14
	v_lshlrev_b64 v[1:2], 4, v[1:2]
	v_mad_u64_u32 v[17:18], null, s15, v18, v[12:13]
	v_mov_b32_e32 v8, v15
	v_lshlrev_b64 v[5:6], 4, v[5:6]
	v_mov_b32_e32 v10, v16
	v_add_co_u32 v13, s0, s18, v1
	v_add_co_ci_u32_e64 v14, s0, s19, v2, s0
	v_lshlrev_b64 v[7:8], 4, v[7:8]
	v_add_co_u32 v19, s0, v13, v3
	v_add_co_ci_u32_e64 v20, s0, v14, v4, s0
	v_mov_b32_e32 v12, v17
	v_lshlrev_b64 v[1:2], 4, v[9:10]
	v_add_co_u32 v5, s0, v19, v5
	v_add_co_ci_u32_e64 v6, s0, v20, v6, s0
	v_lshlrev_b64 v[3:4], 4, v[11:12]
	v_add_co_u32 v9, s0, v19, v7
	v_add_co_ci_u32_e64 v10, s0, v20, v8, s0
	v_add_co_u32 v11, s0, v19, v1
	v_add_co_ci_u32_e64 v12, s0, v20, v2, s0
	;; [unrolled: 2-line block ×3, first 2 shown]
	s_clause 0x3
	global_load_dwordx4 v[5:8], v[5:6], off
	global_load_dwordx4 v[1:4], v[9:10], off
	;; [unrolled: 1-line block ×4, first 2 shown]
	s_mov_b32 s1, exec_lo
                                        ; implicit-def: $vgpr17_vgpr18
	v_cmpx_gt_u32_e32 14, v36
	s_cbranch_execz .LBB0_7
; %bb.6:
	v_add_nc_u32_e32 v30, 36, v38
	v_add_nc_u32_e32 v29, 22, v38
	;; [unrolled: 1-line block ×3, first 2 shown]
	v_mad_u64_u32 v[17:18], null, s14, v36, 0
	v_mad_u64_u32 v[23:24], null, s14, v30, 0
	;; [unrolled: 1-line block ×5, first 2 shown]
	v_mov_b32_e32 v18, v24
	v_mad_u64_u32 v[28:29], null, s15, v29, v[22:23]
	v_mov_b32_e32 v24, v26
	v_mad_u64_u32 v[29:30], null, s15, v30, v[18:19]
	;; [unrolled: 2-line block ×3, first 2 shown]
	v_mov_b32_e32 v22, v28
	v_lshlrev_b64 v[17:18], 4, v[17:18]
	v_mov_b32_e32 v24, v29
	v_lshlrev_b64 v[21:22], 4, v[21:22]
	;; [unrolled: 2-line block ×3, first 2 shown]
	v_add_co_u32 v17, s0, v19, v17
	v_add_co_ci_u32_e64 v18, s0, v20, v18, s0
	v_add_co_u32 v21, s0, v19, v21
	v_lshlrev_b64 v[25:26], 4, v[25:26]
	v_add_co_ci_u32_e64 v22, s0, v20, v22, s0
	v_add_co_u32 v27, s0, v19, v23
	v_add_co_ci_u32_e64 v28, s0, v20, v24, s0
	v_add_co_u32 v25, s0, v19, v25
	v_add_co_ci_u32_e64 v26, s0, v20, v26, s0
	s_clause 0x3
	global_load_dwordx4 v[17:20], v[17:18], off
	global_load_dwordx4 v[21:24], v[21:22], off
	;; [unrolled: 1-line block ×4, first 2 shown]
.LBB0_7:
	s_or_b32 exec_lo, exec_lo, s1
	v_mov_b32_e32 v34, v38
.LBB0_8:
	s_or_b32 exec_lo, exec_lo, s16
	s_waitcnt vmcnt(1)
	v_add_f64 v[45:46], v[5:6], -v[9:10]
	v_add_f64 v[47:48], v[7:8], -v[11:12]
	s_waitcnt vmcnt(0)
	v_add_f64 v[9:10], v[1:2], -v[13:14]
	v_add_f64 v[11:12], v[3:4], -v[15:16]
	s_mov_b32 s1, exec_lo
	v_fma_f64 v[13:14], v[5:6], 2.0, -v[45:46]
	v_fma_f64 v[15:16], v[7:8], 2.0, -v[47:48]
	;; [unrolled: 1-line block ×4, first 2 shown]
	v_add_f64 v[5:6], v[17:18], -v[29:30]
	v_add_f64 v[7:8], v[19:20], -v[31:32]
	v_add_f64 v[29:30], v[11:12], v[45:46]
	v_add_f64 v[31:32], v[47:48], -v[9:10]
	v_add_f64 v[11:12], v[23:24], -v[27:28]
	;; [unrolled: 1-line block ×5, first 2 shown]
	v_fma_f64 v[25:26], v[45:46], 2.0, -v[29:30]
	v_fma_f64 v[27:28], v[47:48], 2.0, -v[31:32]
	v_add_f64 v[1:2], v[11:12], v[5:6]
	v_add_f64 v[3:4], v[7:8], -v[9:10]
	v_fma_f64 v[45:46], v[13:14], 2.0, -v[41:42]
	v_fma_f64 v[47:48], v[15:16], 2.0, -v[43:44]
	v_mul_u32_u24_e32 v14, 56, v35
	v_lshl_add_u32 v13, v34, 6, 0
	v_lshl_add_u32 v15, v14, 4, v13
	v_lshlrev_b32_e32 v14, 4, v14
	ds_write_b128 v15, v[25:28] offset:16
	ds_write_b128 v15, v[41:44] offset:32
	ds_write_b128 v15, v[45:48]
	ds_write_b128 v15, v[29:32] offset:48
	v_cmpx_gt_u32_e32 6, v34
	s_cbranch_execz .LBB0_10
; %bb.9:
	v_fma_f64 v[15:16], v[19:20], 2.0, -v[7:8]
	v_fma_f64 v[11:12], v[23:24], 2.0, -v[11:12]
	;; [unrolled: 1-line block ×6, first 2 shown]
	v_add_f64 v[11:12], v[15:16], -v[11:12]
	v_add_f64 v[9:10], v[19:20], -v[9:10]
	v_fma_f64 v[17:18], v[15:16], 2.0, -v[11:12]
	v_fma_f64 v[15:16], v[19:20], 2.0, -v[9:10]
	v_lshlrev_b32_e32 v19, 6, v36
	v_add3_u32 v19, 0, v19, v14
	ds_write_b128 v19, v[5:8] offset:16
	ds_write_b128 v19, v[9:12] offset:32
	ds_write_b128 v19, v[15:18]
	ds_write_b128 v19, v[1:4] offset:48
.LBB0_10:
	s_or_b32 exec_lo, exec_lo, s1
	v_and_b32_e32 v35, 3, v0
	s_waitcnt lgkmcnt(0)
	s_barrier
	buffer_gl0_inv
	v_add_nc_u32_e32 v37, 0, v14
	v_mul_u32_u24_e32 v0, 6, v35
	s_mov_b32 s0, 0x37e14327
	s_mov_b32 s14, 0xe976ee23
	;; [unrolled: 1-line block ×3, first 2 shown]
	v_lshl_add_u32 v63, v36, 4, v37
	v_lshlrev_b32_e32 v0, 4, v0
	v_lshl_add_u32 v64, v34, 4, v37
	s_mov_b32 s2, 0x36b3c0b5
	s_mov_b32 s15, 0x3fe11646
	;; [unrolled: 1-line block ×3, first 2 shown]
	s_clause 0x5
	global_load_dwordx4 v[5:8], v0, s[12:13]
	global_load_dwordx4 v[9:12], v0, s[12:13] offset:16
	global_load_dwordx4 v[15:18], v0, s[12:13] offset:80
	global_load_dwordx4 v[19:22], v0, s[12:13] offset:64
	global_load_dwordx4 v[23:26], v0, s[12:13] offset:32
	global_load_dwordx4 v[27:30], v0, s[12:13] offset:48
	v_mul_i32_i24_e32 v0, 0xffffffd0, v34
	s_mov_b32 s16, 0x429ad128
	s_mov_b32 s17, 0xbfebfeb5
	;; [unrolled: 1-line block ×4, first 2 shown]
	v_add3_u32 v0, v13, v0, v14
	ds_read_b128 v[41:44], v63
	ds_read_b128 v[45:48], v0 offset:256
	ds_read_b128 v[49:52], v0 offset:384
	ds_read_b128 v[53:56], v0 offset:768
	s_waitcnt vmcnt(5) lgkmcnt(3)
	v_mul_f64 v[13:14], v[43:44], v[7:8]
	v_mul_f64 v[7:8], v[41:42], v[7:8]
	s_waitcnt vmcnt(4) lgkmcnt(2)
	v_mul_f64 v[31:32], v[47:48], v[11:12]
	v_mul_f64 v[11:12], v[45:46], v[11:12]
	;; [unrolled: 3-line block ×3, first 2 shown]
	v_fma_f64 v[13:14], v[41:42], v[5:6], v[13:14]
	v_fma_f64 v[57:58], v[43:44], v[5:6], -v[7:8]
	ds_read_b128 v[5:8], v64
	v_fma_f64 v[31:32], v[45:46], v[9:10], v[31:32]
	v_fma_f64 v[45:46], v[47:48], v[9:10], -v[11:12]
	ds_read_b128 v[9:12], v0 offset:640
	ds_read_b128 v[41:44], v0 offset:512
	v_fma_f64 v[53:54], v[53:54], v[15:16], v[59:60]
	v_fma_f64 v[15:16], v[55:56], v[15:16], -v[17:18]
	s_waitcnt vmcnt(0) lgkmcnt(0)
	s_barrier
	buffer_gl0_inv
	v_mul_f64 v[17:18], v[9:10], v[21:22]
	v_mul_f64 v[47:48], v[11:12], v[21:22]
	;; [unrolled: 1-line block ×5, first 2 shown]
	v_fma_f64 v[11:12], v[11:12], v[19:20], -v[17:18]
	v_mul_f64 v[17:18], v[41:42], v[29:30]
	v_fma_f64 v[9:10], v[9:10], v[19:20], v[47:48]
	v_fma_f64 v[19:20], v[49:50], v[23:24], v[21:22]
	v_fma_f64 v[21:22], v[51:52], v[23:24], -v[25:26]
	v_fma_f64 v[23:24], v[41:42], v[27:28], v[55:56]
	v_add_f64 v[25:26], v[13:14], v[53:54]
	v_add_f64 v[13:14], v[13:14], -v[53:54]
	v_add_f64 v[41:42], v[45:46], v[11:12]
	v_fma_f64 v[17:18], v[43:44], v[27:28], -v[17:18]
	v_add_f64 v[27:28], v[57:58], v[15:16]
	v_add_f64 v[29:30], v[31:32], v[9:10]
	v_add_f64 v[9:10], v[31:32], -v[9:10]
	v_add_f64 v[43:44], v[19:20], v[23:24]
	v_add_f64 v[11:12], v[45:46], -v[11:12]
	v_add_f64 v[19:20], v[23:24], -v[19:20]
	;; [unrolled: 1-line block ×3, first 2 shown]
	v_add_f64 v[47:48], v[21:22], v[17:18]
	v_add_f64 v[17:18], v[17:18], -v[21:22]
	v_add_f64 v[21:22], v[29:30], v[25:26]
	v_add_f64 v[23:24], v[41:42], v[27:28]
	v_add_f64 v[31:32], v[25:26], -v[43:44]
	v_add_f64 v[49:50], v[43:44], -v[29:30]
	;; [unrolled: 1-line block ×8, first 2 shown]
	v_add_f64 v[21:22], v[43:44], v[21:22]
	v_add_f64 v[23:24], v[47:48], v[23:24]
	v_add_f64 v[43:44], v[11:12], -v[15:16]
	v_add_f64 v[47:48], v[19:20], v[9:10]
	v_add_f64 v[59:60], v[17:18], v[11:12]
	v_mul_f64 v[29:30], v[31:32], s[0:1]
	v_mul_f64 v[53:54], v[53:54], s[14:15]
	v_add_f64 v[19:20], v[13:14], -v[19:20]
	v_add_f64 v[17:18], v[15:16], -v[17:18]
	;; [unrolled: 1-line block ×3, first 2 shown]
	v_mul_f64 v[41:42], v[49:50], s[2:3]
	v_mul_f64 v[61:62], v[57:58], s[16:17]
	;; [unrolled: 1-line block ×5, first 2 shown]
	v_add_f64 v[9:10], v[5:6], v[21:22]
	v_add_f64 v[11:12], v[7:8], v[23:24]
	v_mul_f64 v[5:6], v[43:44], s[16:17]
	s_mov_b32 s0, 0xaaaaaaaa
	s_mov_b32 s15, 0x3fe77f67
	;; [unrolled: 1-line block ×4, first 2 shown]
	v_add_f64 v[7:8], v[47:48], v[13:14]
	v_add_f64 v[13:14], v[59:60], v[15:16]
	v_fma_f64 v[15:16], v[49:50], s[2:3], v[29:30]
	v_fma_f64 v[49:50], v[57:58], s[16:17], -v[53:54]
	v_fma_f64 v[41:42], v[25:26], s[14:15], -v[41:42]
	v_fma_f64 v[47:48], v[51:52], s[2:3], v[31:32]
	v_fma_f64 v[51:52], v[19:20], s[18:19], v[53:54]
	;; [unrolled: 1-line block ×3, first 2 shown]
	s_mov_b32 s19, 0x3fd5d0dc
	v_fma_f64 v[45:46], v[27:28], s[14:15], -v[45:46]
	s_mov_b32 s15, 0xbfe77f67
	v_fma_f64 v[43:44], v[43:44], s[16:17], -v[55:56]
	v_fma_f64 v[5:6], v[17:18], s[18:19], -v[5:6]
	v_fma_f64 v[17:18], v[21:22], s[0:1], v[9:10]
	v_fma_f64 v[21:22], v[23:24], s[0:1], v[11:12]
	v_fma_f64 v[19:20], v[19:20], s[18:19], -v[61:62]
	v_fma_f64 v[23:24], v[25:26], s[14:15], -v[29:30]
	;; [unrolled: 1-line block ×3, first 2 shown]
	s_mov_b32 s0, 0x37c3f68c
	s_mov_b32 s1, 0xbfdc38aa
	v_fma_f64 v[27:28], v[7:8], s[0:1], v[49:50]
	v_fma_f64 v[51:52], v[7:8], s[0:1], v[51:52]
	;; [unrolled: 1-line block ×5, first 2 shown]
	v_add_f64 v[43:44], v[15:16], v[17:18]
	v_add_f64 v[47:48], v[47:48], v[21:22]
	v_fma_f64 v[7:8], v[7:8], s[0:1], v[19:20]
	v_add_f64 v[31:32], v[23:24], v[17:18]
	v_add_f64 v[49:50], v[25:26], v[21:22]
	;; [unrolled: 1-line block ×4, first 2 shown]
	v_lshrrev_b32_e32 v45, 2, v34
	s_mov_b32 s1, exec_lo
	v_add_f64 v[13:14], v[53:54], v[43:44]
	v_add_f64 v[15:16], v[47:48], -v[51:52]
	v_add_f64 v[17:18], v[5:6], v[31:32]
	v_add_f64 v[19:20], v[49:50], -v[7:8]
	v_add_f64 v[21:22], v[25:26], -v[29:30]
	v_add_f64 v[23:24], v[27:28], v[41:42]
	v_add_f64 v[25:26], v[29:30], v[25:26]
	v_add_f64 v[27:28], v[41:42], -v[27:28]
	v_add_f64 v[29:30], v[31:32], -v[5:6]
	v_add_f64 v[31:32], v[7:8], v[49:50]
	v_add_f64 v[5:6], v[43:44], -v[53:54]
	v_add_f64 v[7:8], v[51:52], v[47:48]
	v_mul_u32_u24_e32 v41, 28, v45
	v_or_b32_e32 v35, v41, v35
	v_lshl_add_u32 v35, v35, 4, v37
	ds_write_b128 v35, v[9:12]
	ds_write_b128 v35, v[13:16] offset:64
	ds_write_b128 v35, v[17:20] offset:128
	;; [unrolled: 1-line block ×6, first 2 shown]
	s_waitcnt lgkmcnt(0)
	s_barrier
	buffer_gl0_inv
	ds_read_b128 v[9:12], v64
	ds_read_b128 v[13:16], v63
	ds_read_b128 v[21:24], v0 offset:448
	ds_read_b128 v[17:20], v0 offset:256
	;; [unrolled: 1-line block ×4, first 2 shown]
	v_cmpx_gt_u32_e32 4, v34
	s_cbranch_execz .LBB0_12
; %bb.11:
	ds_read_b128 v[5:8], v0 offset:384
	ds_read_b128 v[1:4], v0 offset:832
.LBB0_12:
	s_or_b32 exec_lo, exec_lo, s1
	s_and_saveexec_b32 s0, vcc_lo
	s_cbranch_execz .LBB0_15
; %bb.13:
	v_mov_b32_e32 v35, 0
	v_lshrrev_b32_e32 v0, 2, v38
	v_add_nc_u32_e32 v57, 16, v38
	v_add_nc_u32_e32 v56, 8, v38
	v_mul_lo_u32 v55, s9, v39
	v_mov_b32_e32 v37, v35
	v_lshlrev_b64 v[41:42], 4, v[34:35]
	v_mul_hi_u32 v53, 0x24924925, v0
	v_lshrrev_b32_e32 v59, 2, v57
	v_lshrrev_b32_e32 v54, 2, v56
	v_lshlrev_b64 v[36:37], 4, v[36:37]
	v_mul_lo_u32 v58, s8, v40
	v_add_co_u32 v45, vcc_lo, s12, v41
	v_add_co_ci_u32_e32 v46, vcc_lo, s13, v42, vcc_lo
	v_add_co_u32 v36, vcc_lo, s12, v36
	v_add_co_ci_u32_e32 v37, vcc_lo, s13, v37, vcc_lo
	v_mul_hi_u32 v61, 0x24924925, v59
	s_clause 0x2
	global_load_dwordx4 v[41:44], v[45:46], off offset:384
	global_load_dwordx4 v[45:48], v[45:46], off offset:640
	;; [unrolled: 1-line block ×3, first 2 shown]
	v_mad_u64_u32 v[36:37], null, s10, v33, 0
	v_mul_lo_u32 v59, v53, 28
	v_mad_u64_u32 v[39:40], null, s8, v39, 0
	v_mul_hi_u32 v60, 0x24924925, v54
	s_load_dwordx2 s[0:1], s[4:5], 0x58
	v_add_nc_u32_e32 v0, 24, v38
	v_mad_u64_u32 v[53:54], null, s11, v33, v[37:38]
	v_sub_nc_u32_e32 v64, v38, v59
	v_add3_u32 v40, v40, v58, v55
	v_mul_lo_u32 v55, v61, 28
	v_mul_lo_u32 v33, v60, 28
	v_cmp_gt_u32_e32 vcc_lo, 28, v0
	v_add_nc_u32_e32 v68, 28, v64
	v_mov_b32_e32 v37, v53
	v_mad_u64_u32 v[53:54], null, s6, v64, 0
	v_lshlrev_b64 v[39:40], 4, v[39:40]
	v_sub_nc_u32_e32 v55, v57, v55
	v_lshlrev_b64 v[36:37], 4, v[36:37]
	v_sub_nc_u32_e32 v33, v56, v33
	v_mad_u64_u32 v[56:57], null, s6, v68, 0
	v_mad_u64_u32 v[58:59], null, v60, 56, v[33:34]
	s_waitcnt lgkmcnt(0)
	v_add_co_u32 v33, s0, s0, v36
	v_mad_u64_u32 v[59:60], null, v61, 56, v[55:56]
	v_add_co_ci_u32_e64 v36, s0, s1, v37, s0
	v_mov_b32_e32 v37, v54
	v_add_co_u32 v33, s0, v33, v39
	v_add_co_ci_u32_e64 v36, s0, v36, v40, s0
	v_mad_u64_u32 v[39:40], null, s7, v64, v[37:38]
	v_mov_b32_e32 v37, v57
	v_mad_u64_u32 v[64:65], null, s6, v58, 0
	v_add_nc_u32_e32 v71, 28, v58
	v_mad_u64_u32 v[66:67], null, s6, v59, 0
	v_mad_u64_u32 v[68:69], null, s7, v68, v[37:38]
	;; [unrolled: 1-line block ×3, first 2 shown]
	v_add_nc_u32_e32 v72, 28, v59
	v_mov_b32_e32 v57, v68
	s_waitcnt vmcnt(2)
	v_mul_f64 v[54:55], v[21:22], v[43:44]
	v_mul_f64 v[43:44], v[23:24], v[43:44]
	s_waitcnt vmcnt(1)
	v_mul_f64 v[60:61], v[29:30], v[47:48]
	s_waitcnt vmcnt(0)
	v_mul_f64 v[62:63], v[25:26], v[51:52]
	v_mul_f64 v[51:52], v[27:28], v[51:52]
	;; [unrolled: 1-line block ×3, first 2 shown]
	v_fma_f64 v[23:24], v[23:24], v[41:42], -v[54:55]
	v_fma_f64 v[21:22], v[21:22], v[41:42], v[43:44]
	v_fma_f64 v[31:32], v[31:32], v[45:46], -v[60:61]
	v_fma_f64 v[40:41], v[27:28], v[49:50], -v[62:63]
	v_fma_f64 v[25:26], v[25:26], v[49:50], v[51:52]
	v_fma_f64 v[42:43], v[29:30], v[45:46], v[47:48]
	v_mov_b32_e32 v27, v65
	v_mov_b32_e32 v28, v67
	;; [unrolled: 1-line block ×3, first 2 shown]
	v_mad_u64_u32 v[44:45], null, s6, v72, 0
	v_mad_u64_u32 v[48:49], null, s7, v58, v[27:28]
	v_mov_b32_e32 v27, v70
	v_lshlrev_b64 v[46:47], 4, v[53:54]
	v_mad_u64_u32 v[49:50], null, s7, v59, v[28:29]
	v_mov_b32_e32 v37, v45
	v_mad_u64_u32 v[52:53], null, s7, v71, v[27:28]
	v_mov_b32_e32 v65, v48
	v_add_f64 v[23:24], v[11:12], -v[23:24]
	v_add_f64 v[21:22], v[9:10], -v[21:22]
	;; [unrolled: 1-line block ×6, first 2 shown]
	v_mad_u64_u32 v[39:40], null, s7, v72, v[37:38]
	v_lshlrev_b64 v[50:51], 4, v[56:57]
	v_add_co_u32 v40, s0, v33, v46
	v_mov_b32_e32 v67, v49
	v_add_co_ci_u32_e64 v41, s0, v36, v47, s0
	v_lshlrev_b64 v[46:47], 4, v[64:65]
	v_mov_b32_e32 v70, v52
	v_add_co_u32 v42, s0, v33, v50
	v_lshlrev_b64 v[48:49], 4, v[66:67]
	v_mov_b32_e32 v45, v39
	v_add_co_ci_u32_e64 v43, s0, v36, v51, s0
	v_fma_f64 v[11:12], v[11:12], 2.0, -v[23:24]
	v_fma_f64 v[9:10], v[9:10], 2.0, -v[21:22]
	v_fma_f64 v[19:20], v[19:20], 2.0, -v[27:28]
	v_fma_f64 v[15:16], v[15:16], 2.0, -v[31:32]
	v_fma_f64 v[13:14], v[13:14], 2.0, -v[29:30]
	v_fma_f64 v[17:18], v[17:18], 2.0, -v[25:26]
	v_lshlrev_b64 v[50:51], 4, v[69:70]
	v_add_co_u32 v46, s0, v33, v46
	v_add_co_ci_u32_e64 v47, s0, v36, v47, s0
	v_lshlrev_b64 v[44:45], 4, v[44:45]
	v_add_co_u32 v48, s0, v33, v48
	v_add_co_ci_u32_e64 v49, s0, v36, v49, s0
	v_add_co_u32 v50, s0, v33, v50
	v_add_co_ci_u32_e64 v51, s0, v36, v51, s0
	;; [unrolled: 2-line block ×3, first 2 shown]
	global_store_dwordx4 v[40:41], v[9:12], off
	global_store_dwordx4 v[42:43], v[21:24], off
	global_store_dwordx4 v[46:47], v[13:16], off
	global_store_dwordx4 v[50:51], v[29:32], off
	global_store_dwordx4 v[48:49], v[17:20], off
	global_store_dwordx4 v[44:45], v[25:28], off
	s_and_b32 exec_lo, exec_lo, vcc_lo
	s_cbranch_execz .LBB0_15
; %bb.14:
	v_or_b32_e32 v9, 24, v34
	v_add_nc_u32_e32 v10, -4, v34
	v_add_nc_u32_e32 v15, 52, v38
	v_cmp_gt_u32_e32 vcc_lo, 28, v9
	v_cndmask_b32_e32 v34, v10, v9, vcc_lo
	v_lshlrev_b64 v[9:10], 4, v[34:35]
	v_add_co_u32 v9, vcc_lo, s12, v9
	v_add_co_ci_u32_e32 v10, vcc_lo, s13, v10, vcc_lo
	global_load_dwordx4 v[9:12], v[9:10], off offset:384
	s_waitcnt vmcnt(0)
	v_mul_f64 v[13:14], v[3:4], v[11:12]
	v_mul_f64 v[11:12], v[1:2], v[11:12]
	v_fma_f64 v[1:2], v[1:2], v[9:10], v[13:14]
	v_fma_f64 v[3:4], v[3:4], v[9:10], -v[11:12]
	v_mad_u64_u32 v[9:10], null, s6, v0, 0
	v_mad_u64_u32 v[11:12], null, s6, v15, 0
	;; [unrolled: 1-line block ×4, first 2 shown]
	v_add_f64 v[1:2], v[5:6], -v[1:2]
	v_add_f64 v[3:4], v[7:8], -v[3:4]
	v_mov_b32_e32 v10, v13
	v_mov_b32_e32 v12, v14
	v_lshlrev_b64 v[9:10], 4, v[9:10]
	v_lshlrev_b64 v[11:12], 4, v[11:12]
	v_add_co_u32 v9, vcc_lo, v33, v9
	v_add_co_ci_u32_e32 v10, vcc_lo, v36, v10, vcc_lo
	v_add_co_u32 v11, vcc_lo, v33, v11
	v_add_co_ci_u32_e32 v12, vcc_lo, v36, v12, vcc_lo
	v_fma_f64 v[5:6], v[5:6], 2.0, -v[1:2]
	v_fma_f64 v[7:8], v[7:8], 2.0, -v[3:4]
	global_store_dwordx4 v[9:10], v[5:8], off
	global_store_dwordx4 v[11:12], v[1:4], off
.LBB0_15:
	s_endpgm
	.section	.rodata,"a",@progbits
	.p2align	6, 0x0
	.amdhsa_kernel fft_rtc_back_len56_factors_4_7_2_wgs_128_tpt_8_dim2_dp_op_CI_CI_sbrr_dirReg
		.amdhsa_group_segment_fixed_size 0
		.amdhsa_private_segment_fixed_size 0
		.amdhsa_kernarg_size 96
		.amdhsa_user_sgpr_count 6
		.amdhsa_user_sgpr_private_segment_buffer 1
		.amdhsa_user_sgpr_dispatch_ptr 0
		.amdhsa_user_sgpr_queue_ptr 0
		.amdhsa_user_sgpr_kernarg_segment_ptr 1
		.amdhsa_user_sgpr_dispatch_id 0
		.amdhsa_user_sgpr_flat_scratch_init 0
		.amdhsa_user_sgpr_private_segment_size 0
		.amdhsa_wavefront_size32 1
		.amdhsa_uses_dynamic_stack 0
		.amdhsa_system_sgpr_private_segment_wavefront_offset 0
		.amdhsa_system_sgpr_workgroup_id_x 1
		.amdhsa_system_sgpr_workgroup_id_y 0
		.amdhsa_system_sgpr_workgroup_id_z 0
		.amdhsa_system_sgpr_workgroup_info 0
		.amdhsa_system_vgpr_workitem_id 0
		.amdhsa_next_free_vgpr 73
		.amdhsa_next_free_sgpr 20
		.amdhsa_reserve_vcc 1
		.amdhsa_reserve_flat_scratch 0
		.amdhsa_float_round_mode_32 0
		.amdhsa_float_round_mode_16_64 0
		.amdhsa_float_denorm_mode_32 3
		.amdhsa_float_denorm_mode_16_64 3
		.amdhsa_dx10_clamp 1
		.amdhsa_ieee_mode 1
		.amdhsa_fp16_overflow 0
		.amdhsa_workgroup_processor_mode 1
		.amdhsa_memory_ordered 1
		.amdhsa_forward_progress 0
		.amdhsa_shared_vgpr_count 0
		.amdhsa_exception_fp_ieee_invalid_op 0
		.amdhsa_exception_fp_denorm_src 0
		.amdhsa_exception_fp_ieee_div_zero 0
		.amdhsa_exception_fp_ieee_overflow 0
		.amdhsa_exception_fp_ieee_underflow 0
		.amdhsa_exception_fp_ieee_inexact 0
		.amdhsa_exception_int_div_zero 0
	.end_amdhsa_kernel
	.text
.Lfunc_end0:
	.size	fft_rtc_back_len56_factors_4_7_2_wgs_128_tpt_8_dim2_dp_op_CI_CI_sbrr_dirReg, .Lfunc_end0-fft_rtc_back_len56_factors_4_7_2_wgs_128_tpt_8_dim2_dp_op_CI_CI_sbrr_dirReg
                                        ; -- End function
	.section	.AMDGPU.csdata,"",@progbits
; Kernel info:
; codeLenInByte = 3744
; NumSgprs: 22
; NumVgprs: 73
; ScratchSize: 0
; MemoryBound: 1
; FloatMode: 240
; IeeeMode: 1
; LDSByteSize: 0 bytes/workgroup (compile time only)
; SGPRBlocks: 2
; VGPRBlocks: 9
; NumSGPRsForWavesPerEU: 22
; NumVGPRsForWavesPerEU: 73
; Occupancy: 12
; WaveLimiterHint : 1
; COMPUTE_PGM_RSRC2:SCRATCH_EN: 0
; COMPUTE_PGM_RSRC2:USER_SGPR: 6
; COMPUTE_PGM_RSRC2:TRAP_HANDLER: 0
; COMPUTE_PGM_RSRC2:TGID_X_EN: 1
; COMPUTE_PGM_RSRC2:TGID_Y_EN: 0
; COMPUTE_PGM_RSRC2:TGID_Z_EN: 0
; COMPUTE_PGM_RSRC2:TIDIG_COMP_CNT: 0
	.text
	.p2alignl 6, 3214868480
	.fill 48, 4, 3214868480
	.type	__hip_cuid_bcadb82362b0c658,@object ; @__hip_cuid_bcadb82362b0c658
	.section	.bss,"aw",@nobits
	.globl	__hip_cuid_bcadb82362b0c658
__hip_cuid_bcadb82362b0c658:
	.byte	0                               ; 0x0
	.size	__hip_cuid_bcadb82362b0c658, 1

	.ident	"AMD clang version 19.0.0git (https://github.com/RadeonOpenCompute/llvm-project roc-6.4.0 25133 c7fe45cf4b819c5991fe208aaa96edf142730f1d)"
	.section	".note.GNU-stack","",@progbits
	.addrsig
	.addrsig_sym __hip_cuid_bcadb82362b0c658
	.amdgpu_metadata
---
amdhsa.kernels:
  - .args:
      - .actual_access:  read_only
        .address_space:  global
        .offset:         0
        .size:           8
        .value_kind:     global_buffer
      - .actual_access:  read_only
        .address_space:  global
        .offset:         8
        .size:           8
        .value_kind:     global_buffer
      - .actual_access:  read_only
        .address_space:  global
        .offset:         16
        .size:           8
        .value_kind:     global_buffer
      - .actual_access:  read_only
        .address_space:  global
        .offset:         24
        .size:           8
        .value_kind:     global_buffer
      - .offset:         32
        .size:           8
        .value_kind:     by_value
      - .actual_access:  read_only
        .address_space:  global
        .offset:         40
        .size:           8
        .value_kind:     global_buffer
      - .actual_access:  read_only
        .address_space:  global
        .offset:         48
        .size:           8
        .value_kind:     global_buffer
      - .offset:         56
        .size:           4
        .value_kind:     by_value
      - .actual_access:  read_only
        .address_space:  global
        .offset:         64
        .size:           8
        .value_kind:     global_buffer
      - .actual_access:  read_only
        .address_space:  global
        .offset:         72
        .size:           8
        .value_kind:     global_buffer
      - .actual_access:  read_only
        .address_space:  global
        .offset:         80
        .size:           8
        .value_kind:     global_buffer
      - .actual_access:  write_only
        .address_space:  global
        .offset:         88
        .size:           8
        .value_kind:     global_buffer
    .group_segment_fixed_size: 0
    .kernarg_segment_align: 8
    .kernarg_segment_size: 96
    .language:       OpenCL C
    .language_version:
      - 2
      - 0
    .max_flat_workgroup_size: 128
    .name:           fft_rtc_back_len56_factors_4_7_2_wgs_128_tpt_8_dim2_dp_op_CI_CI_sbrr_dirReg
    .private_segment_fixed_size: 0
    .sgpr_count:     22
    .sgpr_spill_count: 0
    .symbol:         fft_rtc_back_len56_factors_4_7_2_wgs_128_tpt_8_dim2_dp_op_CI_CI_sbrr_dirReg.kd
    .uniform_work_group_size: 1
    .uses_dynamic_stack: false
    .vgpr_count:     73
    .vgpr_spill_count: 0
    .wavefront_size: 32
    .workgroup_processor_mode: 1
amdhsa.target:   amdgcn-amd-amdhsa--gfx1030
amdhsa.version:
  - 1
  - 2
...

	.end_amdgpu_metadata
